;; amdgpu-corpus repo=ROCm/rocFFT kind=compiled arch=gfx950 opt=O3
	.text
	.amdgcn_target "amdgcn-amd-amdhsa--gfx950"
	.amdhsa_code_object_version 6
	.protected	bluestein_single_fwd_len72_dim1_sp_op_CI_CI ; -- Begin function bluestein_single_fwd_len72_dim1_sp_op_CI_CI
	.globl	bluestein_single_fwd_len72_dim1_sp_op_CI_CI
	.p2align	8
	.type	bluestein_single_fwd_len72_dim1_sp_op_CI_CI,@function
bluestein_single_fwd_len72_dim1_sp_op_CI_CI: ; @bluestein_single_fwd_len72_dim1_sp_op_CI_CI
; %bb.0:
	s_load_dwordx4 s[16:19], s[0:1], 0x28
	v_mul_u32_u24_e32 v1, 0x1c72, v0
	v_lshrrev_b32_e32 v2, 16, v1
	v_mad_u64_u32 v[56:57], s[2:3], s2, 7, v[2:3]
	v_mov_b32_e32 v41, 0
	v_mov_b32_e32 v57, v41
	s_waitcnt lgkmcnt(0)
	v_cmp_gt_u64_e32 vcc, s[16:17], v[56:57]
	s_and_saveexec_b64 s[2:3], vcc
	s_cbranch_execz .LBB0_18
; %bb.1:
	s_load_dwordx4 s[4:7], s[0:1], 0x18
	s_load_dwordx4 s[8:11], s[0:1], 0x0
	v_mul_lo_u16_e32 v1, 9, v2
	v_sub_u16_e32 v58, v0, v1
	v_mov_b32_e32 v4, s18
	s_waitcnt lgkmcnt(0)
	s_load_dwordx4 s[12:15], s[4:5], 0x0
	v_mov_b32_e32 v5, s19
	v_mov_b32_e32 v16, 0x48
	v_lshlrev_b32_e32 v40, 3, v58
	v_mov_b32_e32 v59, v41
	s_waitcnt lgkmcnt(0)
	v_mad_u64_u32 v[0:1], s[2:3], s14, v56, 0
	v_mov_b32_e32 v2, v1
	v_mad_u64_u32 v[2:3], s[2:3], s15, v56, v[2:3]
	v_mov_b32_e32 v1, v2
	;; [unrolled: 2-line block ×4, first 2 shown]
	v_lshl_add_u64 v[0:1], v[0:1], 3, v[4:5]
	v_lshl_add_u64 v[0:1], v[2:3], 3, v[0:1]
	global_load_dwordx2 v[2:3], v[0:1], off
	v_mad_u64_u32 v[0:1], s[2:3], s12, v16, v[0:1]
	s_mul_i32 s4, s13, 0x48
	v_add_u32_e32 v1, s4, v1
	v_mad_u64_u32 v[4:5], s[2:3], s12, v16, v[0:1]
	v_add_u32_e32 v5, s4, v5
	global_load_dwordx2 v[62:63], v40, s[8:9]
	global_load_dwordx2 v[60:61], v40, s[8:9] offset:72
	global_load_dwordx2 v[6:7], v[0:1], off
	global_load_dwordx2 v[8:9], v[4:5], off
	v_mad_u64_u32 v[0:1], s[2:3], s12, v16, v[4:5]
	v_add_u32_e32 v1, s4, v1
	v_mad_u64_u32 v[4:5], s[2:3], s12, v16, v[0:1]
	v_add_u32_e32 v5, s4, v5
	global_load_dwordx2 v[52:53], v40, s[8:9] offset:144
	global_load_dwordx2 v[44:45], v40, s[8:9] offset:216
	global_load_dwordx2 v[10:11], v[4:5], off
	v_mad_u64_u32 v[4:5], s[2:3], s12, v16, v[4:5]
	global_load_dwordx2 v[0:1], v[0:1], off
	v_add_u32_e32 v5, s4, v5
	global_load_dwordx2 v[54:55], v40, s[8:9] offset:288
	global_load_dwordx2 v[12:13], v[4:5], off
	global_load_dwordx2 v[46:47], v40, s[8:9] offset:360
	v_mad_u64_u32 v[4:5], s[2:3], s12, v16, v[4:5]
	v_add_u32_e32 v5, s4, v5
	global_load_dwordx2 v[14:15], v[4:5], off
	global_load_dwordx2 v[50:51], v40, s[8:9] offset:432
	v_mad_u64_u32 v[4:5], s[2:3], s12, v16, v[4:5]
	v_add_u32_e32 v5, s4, v5
	global_load_dwordx2 v[48:49], v40, s[8:9] offset:504
	global_load_dwordx2 v[16:17], v[4:5], off
	s_mov_b32 s2, 0x24924925
	v_mul_hi_u32 v4, v56, s2
	v_sub_u32_e32 v5, v56, v4
	v_lshrrev_b32_e32 v5, 1, v5
	v_add_u32_e32 v4, v5, v4
	v_lshrrev_b32_e32 v4, 2, v4
	v_mul_lo_u32 v4, v4, 7
	v_sub_u32_e32 v4, v56, v4
	v_mul_u32_u24_e32 v4, 0x48, v4
	v_lshlrev_b32_e32 v76, 3, v4
	v_add_u32_e32 v57, v40, v76
	s_load_dwordx4 s[4:7], s[6:7], 0x0
	v_cmp_gt_u16_e32 vcc, 6, v58
	s_load_dwordx2 s[2:3], s[0:1], 0x38
	s_mov_b32 s0, 0x3f3504f3
                                        ; implicit-def: $vgpr32
	s_waitcnt vmcnt(14)
	v_mul_f32_e32 v4, v3, v63
	v_mul_f32_e32 v5, v2, v63
	v_fmac_f32_e32 v4, v2, v62
	v_fma_f32 v5, v3, v62, -v5
	s_waitcnt vmcnt(12)
	v_mul_f32_e32 v2, v7, v61
	v_mul_f32_e32 v3, v6, v61
	v_fmac_f32_e32 v2, v6, v60
	v_fma_f32 v3, v7, v60, -v3
	ds_write2_b64 v57, v[4:5], v[2:3] offset1:9
	s_waitcnt vmcnt(10)
	v_mul_f32_e32 v2, v9, v53
	v_mul_f32_e32 v3, v8, v53
	v_fmac_f32_e32 v2, v8, v52
	v_fma_f32 v3, v9, v52, -v3
	s_waitcnt vmcnt(7)
	v_mul_f32_e32 v4, v1, v45
	v_mul_f32_e32 v5, v0, v45
	v_fmac_f32_e32 v4, v0, v44
	v_fma_f32 v5, v1, v44, -v5
	ds_write2_b64 v57, v[2:3], v[4:5] offset0:18 offset1:27
	s_waitcnt vmcnt(6)
	v_mul_f32_e32 v0, v11, v55
	v_mul_f32_e32 v1, v10, v55
	s_waitcnt vmcnt(4)
	v_mul_f32_e32 v2, v13, v47
	v_mul_f32_e32 v3, v12, v47
	v_fmac_f32_e32 v0, v10, v54
	v_fma_f32 v1, v11, v54, -v1
	v_fmac_f32_e32 v2, v12, v46
	v_fma_f32 v3, v13, v46, -v3
	ds_write2_b64 v57, v[0:1], v[2:3] offset0:36 offset1:45
	s_waitcnt vmcnt(2)
	v_mul_f32_e32 v0, v15, v51
	v_mul_f32_e32 v1, v14, v51
	s_waitcnt vmcnt(0)
	v_mul_f32_e32 v2, v17, v49
	v_mul_f32_e32 v3, v16, v49
	v_fmac_f32_e32 v0, v14, v50
	v_fma_f32 v1, v15, v50, -v1
	v_fmac_f32_e32 v2, v16, v48
	v_fma_f32 v3, v17, v48, -v3
	ds_write2_b64 v57, v[0:1], v[2:3] offset0:54 offset1:63
	s_waitcnt lgkmcnt(0)
	; wave barrier
	s_waitcnt lgkmcnt(0)
	ds_read2_b64 v[0:3], v57 offset1:9
	ds_read2_b64 v[4:7], v57 offset0:36 offset1:45
	ds_read2_b64 v[8:11], v57 offset0:18 offset1:27
	;; [unrolled: 1-line block ×3, first 2 shown]
	s_waitcnt lgkmcnt(0)
	; wave barrier
	s_waitcnt lgkmcnt(0)
	v_pk_add_f32 v[16:17], v[0:1], v[4:5] neg_lo:[0,1] neg_hi:[0,1]
	v_pk_add_f32 v[6:7], v[2:3], v[6:7] neg_lo:[0,1] neg_hi:[0,1]
	;; [unrolled: 1-line block ×4, first 2 shown]
	v_pk_add_f32 v[18:19], v[16:17], v[4:5] op_sel:[0,1] op_sel_hi:[1,0]
	v_pk_add_f32 v[20:21], v[16:17], v[4:5] op_sel:[0,1] op_sel_hi:[1,0] neg_lo:[0,1] neg_hi:[0,1]
	v_pk_fma_f32 v[8:9], v[8:9], 2.0, v[4:5] op_sel_hi:[1,0,1] neg_lo:[0,0,1] neg_hi:[0,0,1]
	v_mov_b32_e32 v21, v19
	v_pk_add_f32 v[4:5], v[6:7], v[14:15] op_sel:[0,1] op_sel_hi:[1,0]
	v_pk_add_f32 v[18:19], v[6:7], v[14:15] op_sel:[0,1] op_sel_hi:[1,0] neg_lo:[0,1] neg_hi:[0,1]
	v_pk_fma_f32 v[0:1], v[0:1], 2.0, v[16:17] op_sel_hi:[1,0,1] neg_lo:[0,0,1] neg_hi:[0,0,1]
	v_mov_b32_e32 v19, v5
	v_pk_fma_f32 v[2:3], v[2:3], 2.0, v[6:7] op_sel_hi:[1,0,1] neg_lo:[0,0,1] neg_hi:[0,0,1]
	v_pk_fma_f32 v[10:11], v[10:11], 2.0, v[14:15] op_sel_hi:[1,0,1] neg_lo:[0,0,1] neg_hi:[0,0,1]
	v_pk_mul_f32 v[4:5], v[18:19], s[0:1] op_sel_hi:[1,0]
	v_pk_fma_f32 v[14:15], v[18:19], s[0:1], v[20:21] op_sel_hi:[1,0,1]
	v_pk_add_f32 v[8:9], v[0:1], v[8:9] neg_lo:[0,1] neg_hi:[0,1]
	v_pk_add_f32 v[10:11], v[2:3], v[10:11] neg_lo:[0,1] neg_hi:[0,1]
	v_pk_add_f32 v[30:31], v[14:15], v[4:5] op_sel:[0,1] op_sel_hi:[1,0]
	v_pk_add_f32 v[14:15], v[14:15], v[4:5] op_sel:[0,1] op_sel_hi:[1,0] neg_lo:[0,1] neg_hi:[0,1]
	v_lshlrev_b16_e32 v4, 3, v58
	v_pk_add_f32 v[28:29], v[8:9], v[10:11] op_sel:[0,1] op_sel_hi:[1,0]
	v_pk_add_f32 v[12:13], v[8:9], v[10:11] op_sel:[0,1] op_sel_hi:[1,0] neg_lo:[0,1] neg_hi:[0,1]
	v_lshl_add_u32 v72, v4, 3, v76
	v_pk_fma_f32 v[4:5], v[0:1], 2.0, v[8:9] op_sel_hi:[1,0,1] neg_lo:[0,0,1] neg_hi:[0,0,1]
	v_pk_fma_f32 v[0:1], v[2:3], 2.0, v[10:11] op_sel_hi:[1,0,1] neg_lo:[0,0,1] neg_hi:[0,0,1]
	v_pk_fma_f32 v[10:11], v[16:17], 2.0, v[20:21] op_sel_hi:[1,0,1] neg_lo:[0,0,1] neg_hi:[0,0,1]
	v_pk_fma_f32 v[2:3], v[6:7], 2.0, v[18:19] op_sel_hi:[1,0,1] neg_lo:[0,0,1] neg_hi:[0,0,1]
	v_pk_add_f32 v[0:1], v[4:5], v[0:1] neg_lo:[0,1] neg_hi:[0,1]
	v_pk_mul_f32 v[6:7], v[2:3], s[0:1] op_sel_hi:[1,0]
	v_pk_fma_f32 v[16:17], v[2:3], s[0:1], v[10:11] op_sel_hi:[1,0,1] neg_lo:[1,0,0] neg_hi:[1,0,0]
	v_mov_b32_e32 v13, v29
	v_pk_add_f32 v[2:3], v[16:17], v[6:7] op_sel:[0,1] op_sel_hi:[1,0] neg_lo:[0,1] neg_hi:[0,1]
	v_pk_add_f32 v[16:17], v[16:17], v[6:7] op_sel:[0,1] op_sel_hi:[1,0]
	v_mov_b32_e32 v15, v31
	v_mov_b32_e32 v3, v17
	v_pk_fma_f32 v[4:5], v[4:5], 2.0, v[0:1] op_sel_hi:[1,0,1] neg_lo:[0,0,1] neg_hi:[0,0,1]
	v_pk_fma_f32 v[6:7], v[10:11], 2.0, v[2:3] op_sel_hi:[1,0,1] neg_lo:[0,0,1] neg_hi:[0,0,1]
	ds_write_b128 v72, v[4:7]
	v_pk_fma_f32 v[4:5], v[8:9], 2.0, v[12:13] op_sel_hi:[1,0,1] neg_lo:[0,0,1] neg_hi:[0,0,1]
	v_pk_fma_f32 v[6:7], v[20:21], 2.0, v[14:15] op_sel_hi:[1,0,1] neg_lo:[0,0,1] neg_hi:[0,0,1]
	ds_write_b128 v72, v[4:7] offset:16
	ds_write_b128 v72, v[0:3] offset:32
	;; [unrolled: 1-line block ×3, first 2 shown]
	s_waitcnt lgkmcnt(0)
	; wave barrier
	s_waitcnt lgkmcnt(0)
	ds_read2_b64 v[16:19], v57 offset1:9
	ds_read2_b64 v[24:27], v57 offset0:24 offset1:33
	ds_read2_b64 v[20:23], v57 offset0:48 offset1:57
	v_cmp_lt_u16_e64 s[0:1], 5, v58
	v_mov_b32_e32 v30, v31
                                        ; implicit-def: $vgpr28
	s_and_saveexec_b64 s[12:13], vcc
	s_cbranch_execz .LBB0_3
; %bb.2:
	ds_read2_b64 v[12:15], v57 offset0:18 offset1:42
	ds_read_b64 v[28:29], v57 offset:528
	s_waitcnt lgkmcnt(1)
	v_mov_b32_e32 v30, v15
	s_waitcnt lgkmcnt(0)
	v_mov_b32_e32 v32, v29
.LBB0_3:
	s_or_b64 exec, exec, s[12:13]
	v_and_b32_e32 v15, 7, v58
	v_lshl_add_u64 v[42:43], v[58:59], 0, 9
	v_lshl_add_u64 v[64:65], v[58:59], 0, 18
	v_lshlrev_b32_e32 v0, 4, v15
	v_and_b32_e32 v29, 7, v42
	v_and_b32_e32 v70, 7, v64
	global_load_dwordx4 v[4:7], v0, s[10:11]
	v_lshlrev_b32_e32 v8, 4, v29
	global_load_dwordx4 v[8:11], v8, s[10:11]
	v_lshlrev_b32_e32 v0, 4, v70
	global_load_dwordx4 v[0:3], v0, s[10:11]
	v_lshrrev_b32_e32 v31, 3, v58
	v_mul_u32_u24_e32 v31, 24, v31
	v_lshrrev_b32_e32 v33, 3, v42
	v_or_b32_e32 v15, v31, v15
	v_mul_u32_u24_e32 v31, 24, v33
	v_lshl_add_u32 v78, v15, 3, v76
	v_or_b32_e32 v15, v31, v29
	v_lshl_add_u32 v77, v15, 3, v76
	s_mov_b32 s12, 0x3f5db3d7
	s_waitcnt lgkmcnt(0)
	; wave barrier
	s_waitcnt lgkmcnt(0)
	v_lshl_add_u32 v79, v70, 3, v76
	s_waitcnt vmcnt(2)
	v_pk_mul_f32 v[34:35], v[24:25], v[4:5] op_sel:[0,1]
	v_mov_b32_e32 v36, v7
	v_pk_fma_f32 v[38:39], v[24:25], v[4:5], v[34:35] op_sel:[0,0,1] op_sel_hi:[1,1,0] neg_lo:[0,0,1] neg_hi:[0,0,1]
	v_pk_fma_f32 v[24:25], v[24:25], v[4:5], v[34:35] op_sel:[0,0,1] op_sel_hi:[1,0,0]
	s_waitcnt vmcnt(0)
	v_pk_mul_f32 v[30:31], v[30:31], v[0:1] op_sel_hi:[0,1]
	v_pk_mul_f32 v[32:33], v[32:33], v[2:3] op_sel_hi:[0,1]
	;; [unrolled: 1-line block ×3, first 2 shown]
	v_pk_mul_f32 v[36:37], v[26:27], v[8:9] op_sel:[0,1]
	v_mov_b32_e32 v24, v11
	v_pk_fma_f32 v[66:67], v[14:15], v[0:1], v[30:31] op_sel:[0,0,1] op_sel_hi:[0,1,0]
	v_pk_fma_f32 v[14:15], v[14:15], v[0:1], v[30:31] op_sel:[0,0,1] op_sel_hi:[0,1,0] neg_lo:[0,0,1] neg_hi:[0,0,1]
	v_pk_fma_f32 v[30:31], v[28:29], v[2:3], v[32:33] op_sel:[0,0,1] op_sel_hi:[0,1,0]
	v_pk_fma_f32 v[28:29], v[28:29], v[2:3], v[32:33] op_sel:[0,0,1] op_sel_hi:[0,1,0] neg_lo:[0,0,1] neg_hi:[0,0,1]
	v_mov_b32_e32 v39, v25
	v_pk_fma_f32 v[32:33], v[20:21], v[6:7], v[34:35] op_sel:[0,0,1] op_sel_hi:[1,1,0] neg_lo:[0,0,1] neg_hi:[0,0,1]
	v_pk_fma_f32 v[20:21], v[20:21], v[6:7], v[34:35] op_sel:[0,0,1] op_sel_hi:[1,0,0]
	v_pk_fma_f32 v[34:35], v[26:27], v[8:9], v[36:37] op_sel:[0,0,1] op_sel_hi:[1,1,0] neg_lo:[0,0,1] neg_hi:[0,0,1]
	v_pk_fma_f32 v[26:27], v[26:27], v[8:9], v[36:37] op_sel:[0,0,1] op_sel_hi:[1,0,0]
	v_pk_mul_f32 v[24:25], v[22:23], v[24:25] op_sel_hi:[1,0]
	v_mov_b32_e32 v15, v67
	v_mov_b32_e32 v29, v31
	;; [unrolled: 1-line block ×3, first 2 shown]
	v_pk_add_f32 v[20:21], v[16:17], v[38:39]
	v_mov_b32_e32 v35, v27
	v_pk_fma_f32 v[26:27], v[22:23], v[10:11], v[24:25] op_sel:[0,0,1] op_sel_hi:[1,1,0] neg_lo:[0,0,1] neg_hi:[0,0,1]
	v_pk_fma_f32 v[22:23], v[22:23], v[10:11], v[24:25] op_sel:[0,0,1] op_sel_hi:[1,0,0]
	v_pk_add_f32 v[24:25], v[12:13], v[14:15]
	v_pk_add_f32 v[30:31], v[14:15], v[28:29]
	v_pk_add_f32 v[14:15], v[14:15], v[28:29] neg_lo:[0,1] neg_hi:[0,1]
	v_pk_add_f32 v[20:21], v[20:21], v[32:33]
	v_pk_add_f32 v[36:37], v[38:39], v[32:33]
	v_pk_add_f32 v[32:33], v[38:39], v[32:33] neg_lo:[0,1] neg_hi:[0,1]
	v_mov_b32_e32 v27, v23
	v_pk_add_f32 v[22:23], v[18:19], v[34:35]
	v_pk_add_f32 v[24:25], v[24:25], v[28:29]
	v_pk_fma_f32 v[12:13], v[30:31], 0.5, v[12:13] op_sel_hi:[1,0,1] neg_lo:[1,0,0] neg_hi:[1,0,0]
	v_pk_mul_f32 v[14:15], v[14:15], s[12:13] op_sel_hi:[1,0]
	v_pk_fma_f32 v[16:17], v[36:37], 0.5, v[16:17] op_sel_hi:[1,0,1] neg_lo:[1,0,0] neg_hi:[1,0,0]
	v_pk_mul_f32 v[28:29], v[32:33], s[12:13] op_sel_hi:[1,0]
	v_pk_add_f32 v[22:23], v[22:23], v[26:27]
	v_pk_add_f32 v[30:31], v[34:35], v[26:27]
	v_pk_add_f32 v[26:27], v[34:35], v[26:27] neg_lo:[0,1] neg_hi:[0,1]
	v_pk_add_f32 v[66:67], v[12:13], v[14:15] op_sel:[0,1] op_sel_hi:[1,0] neg_lo:[0,1] neg_hi:[0,1]
	v_pk_add_f32 v[68:69], v[14:15], v[12:13] op_sel:[1,0] op_sel_hi:[0,1]
	v_pk_add_f32 v[12:13], v[16:17], v[28:29] op_sel:[0,1] op_sel_hi:[1,0]
	v_pk_add_f32 v[14:15], v[16:17], v[28:29] op_sel:[0,1] op_sel_hi:[1,0] neg_lo:[0,1] neg_hi:[0,1]
	v_pk_fma_f32 v[16:17], v[30:31], 0.5, v[18:19] op_sel_hi:[1,0,1] neg_lo:[1,0,0] neg_hi:[1,0,0]
	v_pk_mul_f32 v[18:19], v[26:27], s[12:13] op_sel_hi:[1,0]
	v_mov_b32_e32 v26, v12
	v_mov_b32_e32 v27, v15
	;; [unrolled: 1-line block ×3, first 2 shown]
	v_pk_add_f32 v[12:13], v[16:17], v[18:19] op_sel:[0,1] op_sel_hi:[1,0]
	v_pk_add_f32 v[16:17], v[16:17], v[18:19] op_sel:[0,1] op_sel_hi:[1,0] neg_lo:[0,1] neg_hi:[0,1]
	ds_write2_b64 v78, v[20:21], v[26:27] offset1:8
	ds_write_b64 v78, v[14:15] offset:128
	v_mov_b32_e32 v14, v12
	v_mov_b32_e32 v15, v17
	v_mov_b32_e32 v17, v13
	ds_write2_b64 v77, v[22:23], v[14:15] offset1:8
	ds_write_b64 v77, v[16:17] offset:128
	s_and_saveexec_b64 s[12:13], vcc
	s_cbranch_execz .LBB0_5
; %bb.4:
	v_mov_b32_e32 v12, 0x1c0
	v_lshl_or_b32 v12, v64, 3, v12
	v_add_u32_e32 v14, v76, v12
	v_mov_b32_e32 v12, v68
	v_mov_b32_e32 v13, v67
	ds_write_b64 v14, v[12:13]
	v_mov_b32_e32 v12, v66
	v_mov_b32_e32 v13, v69
	ds_write2_b64 v79, v[24:25], v[12:13] offset0:48 offset1:64
.LBB0_5:
	s_or_b64 exec, exec, s[12:13]
	s_waitcnt lgkmcnt(0)
	; wave barrier
	s_waitcnt lgkmcnt(0)
	ds_read2_b64 v[28:31], v57 offset1:9
	ds_read2_b64 v[36:39], v57 offset0:24 offset1:33
	ds_read2_b64 v[32:35], v57 offset0:48 offset1:57
	s_and_saveexec_b64 s[12:13], s[0:1]
	s_xor_b64 s[12:13], exec, s[12:13]
	s_andn2_saveexec_b64 s[12:13], s[12:13]
	s_cbranch_execz .LBB0_7
; %bb.6:
	ds_read2_b64 v[24:27], v57 offset0:18 offset1:42
	ds_read_b64 v[66:67], v57 offset:528
	s_waitcnt lgkmcnt(1)
	v_mov_b32_e32 v68, v26
	s_waitcnt lgkmcnt(0)
	v_mov_b32_e32 v69, v67
	v_mov_b32_e32 v67, v27
.LBB0_7:
	s_or_b64 exec, exec, s[12:13]
	v_lshlrev_b32_e32 v12, 4, v58
	global_load_dwordx4 v[16:19], v12, s[10:11] offset:128
	v_lshlrev_b32_e32 v12, 4, v42
	global_load_dwordx4 v[20:23], v12, s[10:11] offset:128
	v_lshl_add_u64 v[12:13], v[58:59], 0, -6
	v_cndmask_b32_e32 v13, v13, v65, vcc
	v_cndmask_b32_e32 v12, v12, v64, vcc
	v_lshl_add_u64 v[12:13], v[12:13], 4, s[10:11]
	global_load_dwordx4 v[12:15], v[12:13], off offset:128
	s_mov_b32 s10, 0x3f5db3d7
	v_lshl_add_u64 v[40:41], s[8:9], 0, v[40:41]
	v_lshl_add_u32 v59, v58, 3, v76
	s_waitcnt vmcnt(2) lgkmcnt(1)
	v_pk_mul_f32 v[26:27], v[36:37], v[16:17] op_sel:[0,1]
	v_mov_b32_e32 v42, v19
	s_waitcnt vmcnt(1)
	v_pk_mul_f32 v[70:71], v[38:39], v[20:21] op_sel:[0,1]
	v_mov_b32_e32 v74, v23
	v_pk_fma_f32 v[80:81], v[36:37], v[16:17], v[26:27] op_sel:[0,0,1] op_sel_hi:[1,1,0] neg_lo:[0,0,1] neg_hi:[0,0,1]
	v_pk_fma_f32 v[26:27], v[36:37], v[16:17], v[26:27] op_sel:[0,0,1] op_sel_hi:[1,0,0]
	s_waitcnt lgkmcnt(0)
	v_pk_mul_f32 v[36:37], v[32:33], v[42:43] op_sel_hi:[1,0]
	v_pk_fma_f32 v[42:43], v[38:39], v[20:21], v[70:71] op_sel:[0,0,1] op_sel_hi:[1,1,0] neg_lo:[0,0,1] neg_hi:[0,0,1]
	v_pk_fma_f32 v[38:39], v[38:39], v[20:21], v[70:71] op_sel:[0,0,1] op_sel_hi:[1,0,0]
	v_pk_mul_f32 v[70:71], v[34:35], v[74:75] op_sel_hi:[1,0]
	s_waitcnt vmcnt(0)
	v_pk_mul_f32 v[74:75], v[66:67], v[12:13] op_sel:[1,0]
	v_pk_mul_f32 v[82:83], v[68:69], v[14:15] op_sel:[1,0]
	v_mov_b32_e32 v81, v27
	v_pk_fma_f32 v[26:27], v[32:33], v[18:19], v[36:37] op_sel:[0,0,1] op_sel_hi:[1,1,0] neg_lo:[0,0,1] neg_hi:[0,0,1]
	v_pk_fma_f32 v[36:37], v[32:33], v[18:19], v[36:37] op_sel:[0,0,1] op_sel_hi:[1,0,0]
	v_mov_b32_e32 v43, v39
	v_pk_fma_f32 v[38:39], v[34:35], v[22:23], v[70:71] op_sel:[0,0,1] op_sel_hi:[1,1,0] neg_lo:[0,0,1] neg_hi:[0,0,1]
	v_pk_fma_f32 v[70:71], v[34:35], v[22:23], v[70:71] op_sel:[0,0,1] op_sel_hi:[1,0,0]
	v_pk_fma_f32 v[84:85], v[68:69], v[12:13], v[74:75] op_sel:[0,0,1] op_sel_hi:[0,1,0]
	v_pk_fma_f32 v[32:33], v[68:69], v[12:13], v[74:75] op_sel:[0,0,1] op_sel_hi:[0,1,0] neg_lo:[0,0,1] neg_hi:[0,0,1]
	v_pk_fma_f32 v[68:69], v[66:67], v[14:15], v[82:83] op_sel:[0,0,1] op_sel_hi:[0,1,0]
	v_pk_fma_f32 v[34:35], v[66:67], v[14:15], v[82:83] op_sel:[0,0,1] op_sel_hi:[0,1,0] neg_lo:[0,0,1] neg_hi:[0,0,1]
	v_mov_b32_e32 v27, v37
	v_pk_add_f32 v[36:37], v[28:29], v[80:81]
	v_mov_b32_e32 v39, v71
	v_pk_add_f32 v[66:67], v[30:31], v[42:43]
	v_mov_b32_e32 v33, v85
	v_mov_b32_e32 v35, v69
	v_pk_add_f32 v[36:37], v[36:37], v[26:27]
	v_pk_add_f32 v[68:69], v[80:81], v[26:27]
	v_pk_add_f32 v[26:27], v[80:81], v[26:27] neg_lo:[0,1] neg_hi:[0,1]
	v_pk_add_f32 v[66:67], v[66:67], v[38:39]
	v_pk_add_f32 v[70:71], v[42:43], v[38:39]
	v_pk_add_f32 v[38:39], v[42:43], v[38:39] neg_lo:[0,1] neg_hi:[0,1]
	v_pk_add_f32 v[42:43], v[32:33], v[34:35]
	v_pk_add_f32 v[74:75], v[32:33], v[34:35] neg_lo:[0,1] neg_hi:[0,1]
	v_pk_fma_f32 v[28:29], v[68:69], 0.5, v[28:29] op_sel_hi:[1,0,1] neg_lo:[1,0,0] neg_hi:[1,0,0]
	v_pk_mul_f32 v[26:27], v[26:27], s[10:11] op_sel_hi:[1,0]
	v_pk_fma_f32 v[30:31], v[70:71], 0.5, v[30:31] op_sel_hi:[1,0,1] neg_lo:[1,0,0] neg_hi:[1,0,0]
	v_pk_mul_f32 v[38:39], v[38:39], s[10:11] op_sel_hi:[1,0]
	;; [unrolled: 2-line block ×3, first 2 shown]
	v_pk_add_f32 v[70:71], v[28:29], v[26:27] op_sel:[0,1] op_sel_hi:[1,0]
	v_pk_add_f32 v[74:75], v[28:29], v[26:27] op_sel:[0,1] op_sel_hi:[1,0] neg_lo:[0,1] neg_hi:[0,1]
	v_pk_add_f32 v[26:27], v[30:31], v[38:39] op_sel:[0,1] op_sel_hi:[1,0]
	v_pk_add_f32 v[38:39], v[30:31], v[38:39] op_sel:[0,1] op_sel_hi:[1,0] neg_lo:[0,1] neg_hi:[0,1]
	;; [unrolled: 2-line block ×3, first 2 shown]
	v_mov_b32_e32 v42, v70
	v_mov_b32_e32 v43, v75
	v_mov_b32_e32 v75, v71
	v_mov_b32_e32 v68, v26
	v_mov_b32_e32 v69, v39
	v_mov_b32_e32 v39, v27
	v_mov_b32_e32 v26, v30
	v_mov_b32_e32 v27, v29
	ds_write2_b64 v59, v[42:43], v[74:75] offset0:24 offset1:48
	ds_write2_b64 v57, v[36:37], v[66:67] offset1:9
	ds_write2_b64 v57, v[68:69], v[38:39] offset0:33 offset1:57
	s_and_saveexec_b64 s[10:11], vcc
	s_cbranch_execz .LBB0_9
; %bb.8:
	v_pk_add_f32 v[24:25], v[24:25], v[32:33]
	v_mov_b32_e32 v29, v31
	v_pk_add_f32 v[24:25], v[24:25], v[34:35]
	ds_write_b64 v57, v[24:25] offset:144
	ds_write2_b64 v59, v[28:29], v[26:27] offset0:42 offset1:66
.LBB0_9:
	s_or_b64 exec, exec, s[10:11]
	s_waitcnt lgkmcnt(0)
	; wave barrier
	s_waitcnt lgkmcnt(0)
	global_load_dwordx2 v[24:25], v[40:41], off offset:576
	s_add_u32 s8, s8, 0x240
	s_addc_u32 s9, s9, 0
	v_lshlrev_b32_e32 v28, 3, v58
	global_load_dwordx2 v[40:41], v28, s[8:9] offset:72
	global_load_dwordx2 v[42:43], v28, s[8:9] offset:144
	;; [unrolled: 1-line block ×7, first 2 shown]
	ds_read2_b64 v[28:31], v57 offset1:9
	ds_read2_b64 v[32:35], v57 offset0:27 offset1:36
	ds_read2_b64 v[36:39], v57 offset0:45 offset1:54
	ds_read_b64 v[88:89], v59 offset:144
	ds_read_b64 v[90:91], v57 offset:504
	s_mov_b32 s8, 0x3f3504f3
	v_mov_b32_e32 v70, v4
	v_mov_b32_e32 v71, v4
	;; [unrolled: 1-line block ×7, first 2 shown]
	s_waitcnt vmcnt(7) lgkmcnt(4)
	v_mul_f32_e32 v65, v29, v25
	v_mul_f32_e32 v93, v28, v25
	v_fma_f32 v92, v28, v24, -v65
	v_fmac_f32_e32 v93, v29, v24
	s_waitcnt vmcnt(6)
	v_mul_f32_e32 v24, v31, v41
	v_mul_f32_e32 v25, v30, v41
	s_waitcnt vmcnt(5) lgkmcnt(1)
	v_mul_f32_e32 v28, v89, v43
	v_mul_f32_e32 v29, v88, v43
	s_waitcnt vmcnt(4)
	v_mul_f32_e32 v65, v33, v75
	v_mul_f32_e32 v41, v32, v75
	s_waitcnt vmcnt(3)
	;; [unrolled: 3-line block ×4, first 2 shown]
	v_mul_f32_e32 v94, v39, v85
	v_mul_f32_e32 v81, v38, v85
	s_waitcnt vmcnt(0) lgkmcnt(0)
	v_mul_f32_e32 v85, v91, v87
	v_mul_f32_e32 v83, v90, v87
	v_fma_f32 v24, v30, v40, -v24
	v_fmac_f32_e32 v25, v31, v40
	v_fma_f32 v28, v88, v42, -v28
	v_fmac_f32_e32 v29, v89, v42
	;; [unrolled: 2-line block ×7, first 2 shown]
	ds_write2_b64 v57, v[92:93], v[24:25] offset1:9
	ds_write_b64 v59, v[28:29] offset:144
	ds_write2_b64 v57, v[40:41], v[42:43] offset0:27 offset1:36
	ds_write2_b64 v57, v[74:75], v[80:81] offset0:45 offset1:54
	ds_write_b64 v57, v[82:83] offset:504
	s_waitcnt lgkmcnt(0)
	; wave barrier
	s_waitcnt lgkmcnt(0)
	ds_read2_b64 v[28:31], v57 offset1:9
	ds_read2_b64 v[32:35], v57 offset0:27 offset1:36
	ds_read2_b64 v[36:39], v57 offset0:45 offset1:54
	ds_read_b64 v[24:25], v59 offset:144
	ds_read_b64 v[40:41], v57 offset:504
	s_waitcnt lgkmcnt(0)
	v_pk_add_f32 v[34:35], v[28:29], v[34:35] neg_lo:[0,1] neg_hi:[0,1]
	v_pk_add_f32 v[42:43], v[30:31], v[36:37] neg_lo:[0,1] neg_hi:[0,1]
	;; [unrolled: 1-line block ×4, first 2 shown]
	v_pk_fma_f32 v[40:41], v[28:29], 2.0, v[34:35] op_sel_hi:[1,0,1] neg_lo:[0,0,1] neg_hi:[0,0,1]
	v_pk_fma_f32 v[24:25], v[24:25], 2.0, v[38:39] op_sel_hi:[1,0,1] neg_lo:[0,0,1] neg_hi:[0,0,1]
	;; [unrolled: 1-line block ×4, first 2 shown]
	v_pk_add_f32 v[82:83], v[34:35], v[38:39] op_sel:[0,1] op_sel_hi:[1,0]
	v_pk_add_f32 v[30:31], v[34:35], v[38:39] op_sel:[0,1] op_sel_hi:[1,0] neg_lo:[0,1] neg_hi:[0,1]
	v_pk_add_f32 v[38:39], v[42:43], v[36:37] op_sel:[0,1] op_sel_hi:[1,0]
	v_pk_add_f32 v[32:33], v[42:43], v[36:37] op_sel:[0,1] op_sel_hi:[1,0] neg_lo:[0,1] neg_hi:[0,1]
	v_mov_b32_e32 v83, v31
	v_mov_b32_e32 v39, v33
	v_pk_add_f32 v[84:85], v[40:41], v[24:25] neg_lo:[0,1] neg_hi:[0,1]
	v_pk_add_f32 v[36:37], v[80:81], v[28:29] neg_lo:[0,1] neg_hi:[0,1]
	v_pk_mul_f32 v[24:25], v[38:39], s[8:9] op_sel_hi:[1,0]
	v_pk_fma_f32 v[32:33], v[38:39], s[8:9], v[82:83] op_sel_hi:[1,0,1]
	v_pk_fma_f32 v[40:41], v[40:41], 2.0, v[84:85] op_sel_hi:[1,0,1] neg_lo:[0,0,1] neg_hi:[0,0,1]
	v_pk_add_f32 v[30:31], v[32:33], v[24:25] op_sel:[0,1] op_sel_hi:[1,0]
	v_pk_add_f32 v[24:25], v[32:33], v[24:25] op_sel:[0,1] op_sel_hi:[1,0] neg_lo:[0,1] neg_hi:[0,1]
	v_pk_fma_f32 v[32:33], v[80:81], 2.0, v[36:37] op_sel_hi:[1,0,1] neg_lo:[0,0,1] neg_hi:[0,0,1]
	v_pk_add_f32 v[28:29], v[84:85], v[36:37] op_sel:[0,1] op_sel_hi:[1,0]
	v_pk_add_f32 v[32:33], v[40:41], v[32:33] neg_lo:[0,1] neg_hi:[0,1]
	v_pk_add_f32 v[74:75], v[84:85], v[36:37] op_sel:[0,1] op_sel_hi:[1,0] neg_lo:[0,1] neg_hi:[0,1]
	v_pk_fma_f32 v[36:37], v[40:41], 2.0, v[32:33] op_sel_hi:[1,0,1] neg_lo:[0,0,1] neg_hi:[0,0,1]
	v_pk_fma_f32 v[40:41], v[34:35], 2.0, v[82:83] op_sel_hi:[1,0,1] neg_lo:[0,0,1] neg_hi:[0,0,1]
	;; [unrolled: 1-line block ×3, first 2 shown]
	v_mov_b32_e32 v29, v75
	v_pk_mul_f32 v[38:39], v[34:35], s[8:9] op_sel_hi:[1,0]
	v_pk_fma_f32 v[42:43], v[34:35], s[8:9], v[40:41] op_sel_hi:[1,0,1] neg_lo:[1,0,0] neg_hi:[1,0,0]
	v_mov_b32_e32 v31, v25
	v_pk_add_f32 v[34:35], v[42:43], v[38:39] op_sel:[0,1] op_sel_hi:[1,0]
	v_pk_add_f32 v[42:43], v[42:43], v[38:39] op_sel:[0,1] op_sel_hi:[1,0] neg_lo:[0,1] neg_hi:[0,1]
	; wave barrier
	s_nop 0
	v_mov_b32_e32 v35, v43
	v_pk_fma_f32 v[38:39], v[40:41], 2.0, v[34:35] op_sel_hi:[1,0,1] neg_lo:[0,0,1] neg_hi:[0,0,1]
	ds_write_b128 v72, v[36:39]
	v_pk_fma_f32 v[36:37], v[84:85], 2.0, v[28:29] op_sel_hi:[1,0,1] neg_lo:[0,0,1] neg_hi:[0,0,1]
	v_pk_fma_f32 v[38:39], v[82:83], 2.0, v[30:31] op_sel_hi:[1,0,1] neg_lo:[0,0,1] neg_hi:[0,0,1]
	ds_write_b128 v72, v[36:39] offset:16
	ds_write_b128 v72, v[32:35] offset:32
	;; [unrolled: 1-line block ×3, first 2 shown]
	s_waitcnt lgkmcnt(0)
	; wave barrier
	s_waitcnt lgkmcnt(0)
	ds_read2_b64 v[32:35], v57 offset1:9
	ds_read2_b64 v[40:43], v57 offset0:24 offset1:33
	ds_read2_b64 v[36:39], v57 offset0:48 offset1:57
	v_mov_b32_e32 v67, v8
	v_mov_b32_e32 v8, v9
	;; [unrolled: 1-line block ×5, first 2 shown]
	s_and_saveexec_b64 s[8:9], vcc
	s_cbranch_execz .LBB0_11
; %bb.10:
	ds_read_b64 v[28:29], v59 offset:144
	ds_read2_b64 v[24:27], v57 offset0:42 offset1:66
	s_waitcnt lgkmcnt(1)
	v_mov_b32_e32 v75, v29
	s_waitcnt lgkmcnt(0)
	v_mov_b32_e32 v30, v24
.LBB0_11:
	s_or_b64 exec, exec, s[8:9]
	v_mov_b32_e32 v24, v25
	v_pk_mul_f32 v[24:25], v[0:1], v[24:25] op_sel_hi:[1,0]
	v_mov_b32_e32 v74, v27
	v_mov_b32_e32 v29, v75
	v_pk_mul_f32 v[74:75], v[2:3], v[74:75] op_sel_hi:[1,0]
	v_pk_fma_f32 v[80:81], v[0:1], v[30:31], v[24:25] op_sel:[0,0,1] op_sel_hi:[1,1,0]
	v_pk_fma_f32 v[0:1], v[0:1], v[30:31], v[24:25] op_sel:[0,0,1] op_sel_hi:[1,0,0] neg_lo:[1,0,0] neg_hi:[1,0,0]
	s_mov_b32 s8, 0x3f5db3d7
	v_mov_b32_e32 v81, v1
	v_pk_fma_f32 v[0:1], v[2:3], v[26:27], v[74:75] op_sel:[0,0,1] op_sel_hi:[1,1,0]
	v_pk_fma_f32 v[2:3], v[2:3], v[26:27], v[74:75] op_sel:[0,0,1] op_sel_hi:[1,0,0] neg_lo:[1,0,0] neg_hi:[1,0,0]
	s_waitcnt lgkmcnt(1)
	v_pk_mul_f32 v[4:5], v[4:5], v[40:41]
	v_mov_b32_e32 v1, v3
	v_pk_add_f32 v[2:3], v[80:81], v[28:29]
	s_waitcnt lgkmcnt(0)
	v_pk_mul_f32 v[6:7], v[6:7], v[36:37]
	v_pk_add_f32 v[30:31], v[2:3], v[0:1]
	v_pk_add_f32 v[2:3], v[80:81], v[0:1]
	v_pk_add_f32 v[0:1], v[80:81], v[0:1] neg_lo:[0,1] neg_hi:[0,1]
	v_pk_fma_f32 v[2:3], v[2:3], 0.5, v[28:29] op_sel_hi:[1,0,1] neg_lo:[1,0,0] neg_hi:[1,0,0]
	v_pk_mul_f32 v[0:1], v[0:1], s[8:9] op_sel_hi:[1,0]
	v_pk_mul_f32 v[8:9], v[8:9], v[42:43]
	v_pk_add_f32 v[28:29], v[0:1], v[2:3] op_sel:[1,0] op_sel_hi:[0,1]
	v_pk_add_f32 v[0:1], v[2:3], v[0:1] op_sel:[0,1] op_sel_hi:[1,0] neg_lo:[0,1] neg_hi:[0,1]
	v_pk_fma_f32 v[2:3], v[70:71], v[40:41], v[4:5] op_sel:[0,0,1] op_sel_hi:[1,1,0]
	v_pk_fma_f32 v[4:5], v[70:71], v[40:41], v[4:5] op_sel:[0,0,1] op_sel_hi:[1,1,0] neg_lo:[0,0,1] neg_hi:[0,0,1]
	v_pk_mul_f32 v[10:11], v[10:11], v[38:39]
	v_mov_b32_e32 v3, v5
	v_pk_fma_f32 v[4:5], v[68:69], v[36:37], v[6:7] op_sel:[0,0,1] op_sel_hi:[1,1,0]
	v_pk_fma_f32 v[6:7], v[68:69], v[36:37], v[6:7] op_sel:[0,0,1] op_sel_hi:[1,1,0] neg_lo:[0,0,1] neg_hi:[0,0,1]
	s_nop 0
	v_mov_b32_e32 v5, v7
	v_pk_add_f32 v[6:7], v[32:33], v[2:3]
	v_pk_add_f32 v[24:25], v[2:3], v[4:5]
	v_pk_add_f32 v[2:3], v[2:3], v[4:5] neg_lo:[0,1] neg_hi:[0,1]
	v_pk_fma_f32 v[24:25], v[24:25], 0.5, v[32:33] op_sel_hi:[1,0,1] neg_lo:[1,0,0] neg_hi:[1,0,0]
	v_pk_mul_f32 v[2:3], v[2:3], s[8:9] op_sel_hi:[1,0]
	v_pk_add_f32 v[6:7], v[6:7], v[4:5]
	v_pk_add_f32 v[4:5], v[24:25], v[2:3] op_sel:[0,1] op_sel_hi:[1,0] neg_lo:[0,1] neg_hi:[0,1]
	v_pk_add_f32 v[2:3], v[24:25], v[2:3] op_sel:[0,1] op_sel_hi:[1,0]
	; wave barrier
	s_nop 0
	v_mov_b32_e32 v25, v3
	v_mov_b32_e32 v3, v5
	;; [unrolled: 1-line block ×3, first 2 shown]
	ds_write_b64 v78, v[2:3] offset:128
	v_pk_fma_f32 v[2:3], v[66:67], v[42:43], v[8:9] op_sel:[0,0,1] op_sel_hi:[1,1,0]
	v_pk_fma_f32 v[4:5], v[66:67], v[42:43], v[8:9] op_sel:[0,0,1] op_sel_hi:[1,1,0] neg_lo:[0,0,1] neg_hi:[0,0,1]
	ds_write2_b64 v78, v[6:7], v[24:25] offset1:8
	v_mov_b32_e32 v3, v5
	v_pk_fma_f32 v[4:5], v[72:73], v[38:39], v[10:11] op_sel:[0,0,1] op_sel_hi:[1,1,0]
	v_pk_fma_f32 v[6:7], v[72:73], v[38:39], v[10:11] op_sel:[0,0,1] op_sel_hi:[1,1,0] neg_lo:[0,0,1] neg_hi:[0,0,1]
	s_nop 0
	v_mov_b32_e32 v5, v7
	v_pk_add_f32 v[6:7], v[34:35], v[2:3]
	v_pk_add_f32 v[8:9], v[2:3], v[4:5]
	v_pk_add_f32 v[2:3], v[2:3], v[4:5] neg_lo:[0,1] neg_hi:[0,1]
	v_pk_fma_f32 v[8:9], v[8:9], 0.5, v[34:35] op_sel_hi:[1,0,1] neg_lo:[1,0,0] neg_hi:[1,0,0]
	v_pk_mul_f32 v[2:3], v[2:3], s[8:9] op_sel_hi:[1,0]
	v_pk_add_f32 v[6:7], v[6:7], v[4:5]
	v_pk_add_f32 v[4:5], v[8:9], v[2:3] op_sel:[0,1] op_sel_hi:[1,0] neg_lo:[0,1] neg_hi:[0,1]
	v_pk_add_f32 v[2:3], v[8:9], v[2:3] op_sel:[0,1] op_sel_hi:[1,0]
	v_mov_b32_e32 v8, v4
	v_mov_b32_e32 v9, v3
	;; [unrolled: 1-line block ×3, first 2 shown]
	ds_write2_b64 v77, v[6:7], v[8:9] offset1:8
	ds_write_b64 v77, v[2:3] offset:128
	s_and_saveexec_b64 s[8:9], vcc
	s_cbranch_execz .LBB0_13
; %bb.12:
	v_mov_b32_e32 v2, 0x1c0
	v_lshl_or_b32 v2, v64, 3, v2
	v_add_u32_e32 v4, v76, v2
	v_mov_b32_e32 v2, v0
	v_mov_b32_e32 v3, v29
	ds_write_b64 v4, v[2:3]
	v_mov_b32_e32 v2, v28
	v_mov_b32_e32 v3, v1
	ds_write2_b64 v79, v[30:31], v[2:3] offset0:48 offset1:64
.LBB0_13:
	s_or_b64 exec, exec, s[8:9]
	s_waitcnt lgkmcnt(0)
	; wave barrier
	s_waitcnt lgkmcnt(0)
	ds_read2_b64 v[4:7], v57 offset1:9
	ds_read2_b64 v[24:27], v57 offset0:24 offset1:33
	ds_read2_b64 v[8:11], v57 offset0:48 offset1:57
	s_and_saveexec_b64 s[8:9], s[0:1]
	s_xor_b64 s[0:1], exec, s[8:9]
	s_or_saveexec_b64 s[0:1], s[0:1]
	v_mov_b32_e32 v38, v16
	v_mov_b32_e32 v39, v16
	;; [unrolled: 1-line block ×12, first 2 shown]
	v_add_u32_e32 v40, 0x48, v57
	s_xor_b64 exec, exec, s[0:1]
	s_cbranch_execz .LBB0_15
; %bb.14:
	ds_read2_b64 v[0:3], v57 offset0:42 offset1:66
	ds_read_b64 v[30:31], v59 offset:144
	s_waitcnt lgkmcnt(1)
	v_mov_b32_e32 v28, v2
	v_mov_b32_e32 v29, v1
	;; [unrolled: 1-line block ×3, first 2 shown]
.LBB0_15:
	s_or_b64 exec, exec, s[0:1]
	s_waitcnt lgkmcnt(1)
	v_pk_mul_f32 v[2:3], v[16:17], v[24:25]
	s_waitcnt lgkmcnt(0)
	v_pk_mul_f32 v[16:17], v[18:19], v[8:9]
	v_pk_mul_f32 v[18:19], v[20:21], v[26:27]
	v_pk_mul_f32 v[20:21], v[22:23], v[10:11]
	v_pk_fma_f32 v[22:23], v[38:39], v[24:25], v[2:3] op_sel:[0,0,1] op_sel_hi:[1,1,0]
	v_pk_fma_f32 v[2:3], v[38:39], v[24:25], v[2:3] op_sel:[0,0,1] op_sel_hi:[1,1,0] neg_lo:[0,0,1] neg_hi:[0,0,1]
	s_mov_b32 s0, 0x3f5db3d7
	v_mov_b32_e32 v23, v3
	v_pk_fma_f32 v[2:3], v[36:37], v[8:9], v[16:17] op_sel:[0,0,1] op_sel_hi:[1,1,0]
	v_pk_fma_f32 v[8:9], v[36:37], v[8:9], v[16:17] op_sel:[0,0,1] op_sel_hi:[1,1,0] neg_lo:[0,0,1] neg_hi:[0,0,1]
	s_nop 0
	v_mov_b32_e32 v3, v9
	v_pk_add_f32 v[8:9], v[4:5], v[22:23]
	s_nop 0
	v_pk_add_f32 v[8:9], v[8:9], v[2:3]
	ds_write_b64 v57, v[8:9]
	v_pk_add_f32 v[8:9], v[22:23], v[2:3]
	v_pk_add_f32 v[2:3], v[22:23], v[2:3] neg_lo:[0,1] neg_hi:[0,1]
	v_pk_fma_f32 v[4:5], v[8:9], 0.5, v[4:5] op_sel_hi:[1,0,1] neg_lo:[1,0,0] neg_hi:[1,0,0]
	v_pk_mul_f32 v[2:3], v[2:3], s[0:1] op_sel_hi:[1,0]
	s_nop 0
	v_pk_add_f32 v[8:9], v[4:5], v[2:3] op_sel:[0,1] op_sel_hi:[1,0] neg_lo:[0,1] neg_hi:[0,1]
	v_pk_add_f32 v[2:3], v[4:5], v[2:3] op_sel:[0,1] op_sel_hi:[1,0]
	v_mov_b32_e32 v4, v8
	v_mov_b32_e32 v5, v3
	;; [unrolled: 1-line block ×3, first 2 shown]
	ds_write2_b64 v59, v[4:5], v[2:3] offset0:24 offset1:48
	v_pk_fma_f32 v[2:3], v[34:35], v[26:27], v[18:19] op_sel:[0,0,1] op_sel_hi:[1,1,0]
	v_pk_fma_f32 v[4:5], v[34:35], v[26:27], v[18:19] op_sel:[0,0,1] op_sel_hi:[1,1,0] neg_lo:[0,0,1] neg_hi:[0,0,1]
	v_pk_fma_f32 v[8:9], v[32:33], v[10:11], v[20:21] op_sel:[0,0,1] op_sel_hi:[1,1,0] neg_lo:[0,0,1] neg_hi:[0,0,1]
	v_mov_b32_e32 v3, v5
	v_pk_fma_f32 v[4:5], v[32:33], v[10:11], v[20:21] op_sel:[0,0,1] op_sel_hi:[1,1,0]
	s_nop 0
	v_mov_b32_e32 v5, v9
	v_pk_add_f32 v[8:9], v[6:7], v[2:3]
	s_nop 0
	v_pk_add_f32 v[8:9], v[8:9], v[4:5]
	ds_write_b64 v57, v[8:9] offset:72
	v_pk_add_f32 v[8:9], v[2:3], v[4:5]
	v_pk_add_f32 v[2:3], v[2:3], v[4:5] neg_lo:[0,1] neg_hi:[0,1]
	v_pk_fma_f32 v[6:7], v[8:9], 0.5, v[6:7] op_sel_hi:[1,0,1] neg_lo:[1,0,0] neg_hi:[1,0,0]
	v_pk_mul_f32 v[2:3], v[2:3], s[0:1] op_sel_hi:[1,0]
	s_nop 0
	v_pk_add_f32 v[4:5], v[6:7], v[2:3] op_sel:[0,1] op_sel_hi:[1,0] neg_lo:[0,1] neg_hi:[0,1]
	v_pk_add_f32 v[2:3], v[6:7], v[2:3] op_sel:[0,1] op_sel_hi:[1,0]
	v_mov_b32_e32 v6, v4
	v_mov_b32_e32 v7, v3
	;; [unrolled: 1-line block ×3, first 2 shown]
	ds_write2_b64 v40, v[6:7], v[2:3] offset0:24 offset1:48
	s_and_saveexec_b64 s[8:9], vcc
	s_cbranch_execz .LBB0_17
; %bb.16:
	v_pk_mul_f32 v[4:5], v[12:13], v[28:29] op_sel:[0,1]
	v_pk_mul_f32 v[2:3], v[14:15], v[0:1] op_sel:[0,1]
	v_pk_fma_f32 v[6:7], v[12:13], v[0:1], v[4:5] op_sel:[0,0,1] op_sel_hi:[1,1,0]
	v_pk_fma_f32 v[0:1], v[12:13], v[0:1], v[4:5] op_sel:[0,0,1] op_sel_hi:[1,0,0] neg_lo:[1,0,0] neg_hi:[1,0,0]
	v_pk_fma_f32 v[4:5], v[14:15], v[28:29], v[2:3] op_sel:[0,0,1] op_sel_hi:[1,1,0]
	v_mov_b32_e32 v7, v1
	v_pk_fma_f32 v[2:3], v[14:15], v[28:29], v[2:3] op_sel:[0,0,1] op_sel_hi:[1,0,0] neg_lo:[1,0,0] neg_hi:[1,0,0]
	v_pk_add_f32 v[0:1], v[6:7], v[30:31]
	v_mov_b32_e32 v5, v3
	v_pk_add_f32 v[0:1], v[0:1], v[4:5]
	ds_write_b64 v59, v[0:1] offset:144
	v_pk_add_f32 v[0:1], v[6:7], v[4:5]
	v_pk_add_f32 v[2:3], v[6:7], v[4:5] neg_lo:[0,1] neg_hi:[0,1]
	v_pk_fma_f32 v[0:1], -0.5, v[0:1], v[30:31] op_sel_hi:[0,1,1]
	v_pk_mul_f32 v[2:3], v[2:3], s[0:1] op_sel_hi:[1,0]
	s_nop 0
	v_pk_add_f32 v[4:5], v[0:1], v[2:3] op_sel:[0,1] op_sel_hi:[1,0] neg_lo:[0,1] neg_hi:[0,1]
	v_pk_add_f32 v[0:1], v[0:1], v[2:3] op_sel:[0,1] op_sel_hi:[1,0]
	v_mov_b32_e32 v2, v4
	v_mov_b32_e32 v3, v1
	;; [unrolled: 1-line block ×3, first 2 shown]
	ds_write2_b64 v59, v[2:3], v[0:1] offset0:42 offset1:66
.LBB0_17:
	s_or_b64 exec, exec, s[8:9]
	s_waitcnt lgkmcnt(0)
	; wave barrier
	s_waitcnt lgkmcnt(0)
	ds_read2_b64 v[0:3], v57 offset1:9
	v_mad_u64_u32 v[6:7], s[0:1], s6, v56, 0
	v_mov_b32_e32 v8, v7
	v_mad_u64_u32 v[8:9], s[0:1], s7, v56, v[8:9]
	v_mov_b32_e32 v7, v8
	s_waitcnt lgkmcnt(0)
	v_mul_f32_e32 v8, v63, v1
	v_fmac_f32_e32 v8, v62, v0
	v_mul_f32_e32 v0, v63, v0
	s_mov_b32 s0, 0x1c71c71c
	v_fma_f32 v0, v62, v1, -v0
	v_cvt_f64_f32_e32 v[8:9], v8
	s_mov_b32 s1, 0x3f8c71c7
	v_cvt_f64_f32_e32 v[0:1], v0
	v_mul_f64 v[8:9], v[8:9], s[0:1]
	v_mul_f64 v[0:1], v[0:1], s[0:1]
	v_mov_b32_e32 v4, s2
	v_mov_b32_e32 v5, s3
	v_cvt_f32_f64_e32 v8, v[8:9]
	v_cvt_f32_f64_e32 v9, v[0:1]
	v_mad_u64_u32 v[0:1], s[2:3], s4, v58, 0
	v_mov_b32_e32 v10, v1
	v_mad_u64_u32 v[10:11], s[2:3], s5, v58, v[10:11]
	v_mov_b32_e32 v1, v10
	v_lshl_add_u64 v[4:5], v[6:7], 3, v[4:5]
	v_lshl_add_u64 v[0:1], v[0:1], 3, v[4:5]
	v_mul_f32_e32 v4, v61, v3
	v_mov_b32_e32 v10, 0x48
	global_store_dwordx2 v[0:1], v[8:9], off
	v_fmac_f32_e32 v4, v60, v2
	v_mul_f32_e32 v2, v61, v2
	v_mad_u64_u32 v[6:7], s[2:3], s4, v10, v[0:1]
	ds_read_b64 v[0:1], v59 offset:144
	v_fma_f32 v2, v60, v3, -v2
	v_cvt_f64_f32_e32 v[4:5], v4
	v_cvt_f64_f32_e32 v[2:3], v2
	v_mul_f64 v[4:5], v[4:5], s[0:1]
	v_mul_f64 v[2:3], v[2:3], s[0:1]
	s_mulk_i32 s5, 0x48
	v_cvt_f32_f64_e32 v4, v[4:5]
	v_cvt_f32_f64_e32 v5, v[2:3]
	v_add_u32_e32 v7, s5, v7
	global_store_dwordx2 v[6:7], v[4:5], off
	ds_read_b64 v[4:5], v57 offset:504
	s_waitcnt lgkmcnt(1)
	v_mul_f32_e32 v2, v53, v1
	v_fmac_f32_e32 v2, v52, v0
	v_mul_f32_e32 v0, v53, v0
	v_fma_f32 v0, v52, v1, -v0
	v_cvt_f64_f32_e32 v[2:3], v2
	v_cvt_f64_f32_e32 v[0:1], v0
	v_mul_f64 v[2:3], v[2:3], s[0:1]
	v_mul_f64 v[0:1], v[0:1], s[0:1]
	v_cvt_f32_f64_e32 v8, v[2:3]
	v_cvt_f32_f64_e32 v9, v[0:1]
	ds_read2_b64 v[0:3], v57 offset0:27 offset1:36
	v_mad_u64_u32 v[6:7], s[2:3], s4, v10, v[6:7]
	v_add_u32_e32 v7, s5, v7
	global_store_dwordx2 v[6:7], v[8:9], off
	s_waitcnt lgkmcnt(0)
	v_mul_f32_e32 v8, v45, v1
	v_fmac_f32_e32 v8, v44, v0
	v_mul_f32_e32 v0, v45, v0
	v_fma_f32 v0, v44, v1, -v0
	v_cvt_f64_f32_e32 v[8:9], v8
	v_cvt_f64_f32_e32 v[0:1], v0
	v_mul_f64 v[8:9], v[8:9], s[0:1]
	v_mul_f64 v[0:1], v[0:1], s[0:1]
	v_cvt_f32_f64_e32 v8, v[8:9]
	v_cvt_f32_f64_e32 v9, v[0:1]
	v_mul_f32_e32 v0, v55, v3
	v_fmac_f32_e32 v0, v54, v2
	v_mad_u64_u32 v[6:7], s[2:3], s4, v10, v[6:7]
	v_cvt_f64_f32_e32 v[0:1], v0
	v_add_u32_e32 v7, s5, v7
	v_mul_f64 v[0:1], v[0:1], s[0:1]
	global_store_dwordx2 v[6:7], v[8:9], off
	v_cvt_f32_f64_e32 v8, v[0:1]
	v_mul_f32_e32 v0, v55, v2
	v_fma_f32 v0, v54, v3, -v0
	v_cvt_f64_f32_e32 v[0:1], v0
	v_mul_f64 v[0:1], v[0:1], s[0:1]
	v_cvt_f32_f64_e32 v9, v[0:1]
	ds_read2_b64 v[0:3], v57 offset0:45 offset1:54
	v_mad_u64_u32 v[6:7], s[2:3], s4, v10, v[6:7]
	v_add_u32_e32 v7, s5, v7
	global_store_dwordx2 v[6:7], v[8:9], off
	s_waitcnt lgkmcnt(0)
	v_mul_f32_e32 v8, v47, v1
	v_fmac_f32_e32 v8, v46, v0
	v_mul_f32_e32 v0, v47, v0
	v_fma_f32 v0, v46, v1, -v0
	v_cvt_f64_f32_e32 v[8:9], v8
	v_cvt_f64_f32_e32 v[0:1], v0
	v_mul_f64 v[8:9], v[8:9], s[0:1]
	v_mul_f64 v[0:1], v[0:1], s[0:1]
	v_cvt_f32_f64_e32 v8, v[8:9]
	v_cvt_f32_f64_e32 v9, v[0:1]
	v_mad_u64_u32 v[0:1], s[2:3], s4, v10, v[6:7]
	v_mul_f32_e32 v6, v51, v3
	v_fmac_f32_e32 v6, v50, v2
	v_mul_f32_e32 v2, v51, v2
	v_fma_f32 v2, v50, v3, -v2
	v_cvt_f64_f32_e32 v[6:7], v6
	v_cvt_f64_f32_e32 v[2:3], v2
	v_mul_f64 v[6:7], v[6:7], s[0:1]
	v_mul_f64 v[2:3], v[2:3], s[0:1]
	v_cvt_f32_f64_e32 v6, v[6:7]
	v_cvt_f32_f64_e32 v7, v[2:3]
	v_mul_f32_e32 v2, v49, v5
	v_fmac_f32_e32 v2, v48, v4
	v_cvt_f64_f32_e32 v[2:3], v2
	v_mul_f64 v[2:3], v[2:3], s[0:1]
	v_add_u32_e32 v1, s5, v1
	v_cvt_f32_f64_e32 v2, v[2:3]
	v_mul_f32_e32 v3, v49, v4
	global_store_dwordx2 v[0:1], v[8:9], off
	v_mad_u64_u32 v[0:1], s[2:3], s4, v10, v[0:1]
	v_fma_f32 v3, v48, v5, -v3
	v_add_u32_e32 v1, s5, v1
	v_cvt_f64_f32_e32 v[4:5], v3
	global_store_dwordx2 v[0:1], v[6:7], off
	v_mul_f64 v[4:5], v[4:5], s[0:1]
	v_mad_u64_u32 v[0:1], s[0:1], s4, v10, v[0:1]
	v_cvt_f32_f64_e32 v3, v[4:5]
	v_add_u32_e32 v1, s5, v1
	global_store_dwordx2 v[0:1], v[2:3], off
.LBB0_18:
	s_endpgm
	.section	.rodata,"a",@progbits
	.p2align	6, 0x0
	.amdhsa_kernel bluestein_single_fwd_len72_dim1_sp_op_CI_CI
		.amdhsa_group_segment_fixed_size 4032
		.amdhsa_private_segment_fixed_size 0
		.amdhsa_kernarg_size 104
		.amdhsa_user_sgpr_count 2
		.amdhsa_user_sgpr_dispatch_ptr 0
		.amdhsa_user_sgpr_queue_ptr 0
		.amdhsa_user_sgpr_kernarg_segment_ptr 1
		.amdhsa_user_sgpr_dispatch_id 0
		.amdhsa_user_sgpr_kernarg_preload_length 0
		.amdhsa_user_sgpr_kernarg_preload_offset 0
		.amdhsa_user_sgpr_private_segment_size 0
		.amdhsa_uses_dynamic_stack 0
		.amdhsa_enable_private_segment 0
		.amdhsa_system_sgpr_workgroup_id_x 1
		.amdhsa_system_sgpr_workgroup_id_y 0
		.amdhsa_system_sgpr_workgroup_id_z 0
		.amdhsa_system_sgpr_workgroup_info 0
		.amdhsa_system_vgpr_workitem_id 0
		.amdhsa_next_free_vgpr 95
		.amdhsa_next_free_sgpr 20
		.amdhsa_accum_offset 96
		.amdhsa_reserve_vcc 1
		.amdhsa_float_round_mode_32 0
		.amdhsa_float_round_mode_16_64 0
		.amdhsa_float_denorm_mode_32 3
		.amdhsa_float_denorm_mode_16_64 3
		.amdhsa_dx10_clamp 1
		.amdhsa_ieee_mode 1
		.amdhsa_fp16_overflow 0
		.amdhsa_tg_split 0
		.amdhsa_exception_fp_ieee_invalid_op 0
		.amdhsa_exception_fp_denorm_src 0
		.amdhsa_exception_fp_ieee_div_zero 0
		.amdhsa_exception_fp_ieee_overflow 0
		.amdhsa_exception_fp_ieee_underflow 0
		.amdhsa_exception_fp_ieee_inexact 0
		.amdhsa_exception_int_div_zero 0
	.end_amdhsa_kernel
	.text
.Lfunc_end0:
	.size	bluestein_single_fwd_len72_dim1_sp_op_CI_CI, .Lfunc_end0-bluestein_single_fwd_len72_dim1_sp_op_CI_CI
                                        ; -- End function
	.section	.AMDGPU.csdata,"",@progbits
; Kernel info:
; codeLenInByte = 5200
; NumSgprs: 26
; NumVgprs: 95
; NumAgprs: 0
; TotalNumVgprs: 95
; ScratchSize: 0
; MemoryBound: 0
; FloatMode: 240
; IeeeMode: 1
; LDSByteSize: 4032 bytes/workgroup (compile time only)
; SGPRBlocks: 3
; VGPRBlocks: 11
; NumSGPRsForWavesPerEU: 26
; NumVGPRsForWavesPerEU: 95
; AccumOffset: 96
; Occupancy: 5
; WaveLimiterHint : 1
; COMPUTE_PGM_RSRC2:SCRATCH_EN: 0
; COMPUTE_PGM_RSRC2:USER_SGPR: 2
; COMPUTE_PGM_RSRC2:TRAP_HANDLER: 0
; COMPUTE_PGM_RSRC2:TGID_X_EN: 1
; COMPUTE_PGM_RSRC2:TGID_Y_EN: 0
; COMPUTE_PGM_RSRC2:TGID_Z_EN: 0
; COMPUTE_PGM_RSRC2:TIDIG_COMP_CNT: 0
; COMPUTE_PGM_RSRC3_GFX90A:ACCUM_OFFSET: 23
; COMPUTE_PGM_RSRC3_GFX90A:TG_SPLIT: 0
	.text
	.p2alignl 6, 3212836864
	.fill 256, 4, 3212836864
	.type	__hip_cuid_5af75a403386052,@object ; @__hip_cuid_5af75a403386052
	.section	.bss,"aw",@nobits
	.globl	__hip_cuid_5af75a403386052
__hip_cuid_5af75a403386052:
	.byte	0                               ; 0x0
	.size	__hip_cuid_5af75a403386052, 1

	.ident	"AMD clang version 19.0.0git (https://github.com/RadeonOpenCompute/llvm-project roc-6.4.0 25133 c7fe45cf4b819c5991fe208aaa96edf142730f1d)"
	.section	".note.GNU-stack","",@progbits
	.addrsig
	.addrsig_sym __hip_cuid_5af75a403386052
	.amdgpu_metadata
---
amdhsa.kernels:
  - .agpr_count:     0
    .args:
      - .actual_access:  read_only
        .address_space:  global
        .offset:         0
        .size:           8
        .value_kind:     global_buffer
      - .actual_access:  read_only
        .address_space:  global
        .offset:         8
        .size:           8
        .value_kind:     global_buffer
      - .actual_access:  read_only
        .address_space:  global
        .offset:         16
        .size:           8
        .value_kind:     global_buffer
      - .actual_access:  read_only
        .address_space:  global
        .offset:         24
        .size:           8
        .value_kind:     global_buffer
      - .actual_access:  read_only
        .address_space:  global
        .offset:         32
        .size:           8
        .value_kind:     global_buffer
      - .offset:         40
        .size:           8
        .value_kind:     by_value
      - .address_space:  global
        .offset:         48
        .size:           8
        .value_kind:     global_buffer
      - .address_space:  global
        .offset:         56
        .size:           8
        .value_kind:     global_buffer
      - .address_space:  global
        .offset:         64
        .size:           8
        .value_kind:     global_buffer
      - .address_space:  global
        .offset:         72
        .size:           8
        .value_kind:     global_buffer
      - .offset:         80
        .size:           4
        .value_kind:     by_value
      - .address_space:  global
        .offset:         88
        .size:           8
        .value_kind:     global_buffer
      - .address_space:  global
        .offset:         96
        .size:           8
        .value_kind:     global_buffer
    .group_segment_fixed_size: 4032
    .kernarg_segment_align: 8
    .kernarg_segment_size: 104
    .language:       OpenCL C
    .language_version:
      - 2
      - 0
    .max_flat_workgroup_size: 63
    .name:           bluestein_single_fwd_len72_dim1_sp_op_CI_CI
    .private_segment_fixed_size: 0
    .sgpr_count:     26
    .sgpr_spill_count: 0
    .symbol:         bluestein_single_fwd_len72_dim1_sp_op_CI_CI.kd
    .uniform_work_group_size: 1
    .uses_dynamic_stack: false
    .vgpr_count:     95
    .vgpr_spill_count: 0
    .wavefront_size: 64
amdhsa.target:   amdgcn-amd-amdhsa--gfx950
amdhsa.version:
  - 1
  - 2
...

	.end_amdgpu_metadata
